;; amdgpu-corpus repo=ROCm/rocFFT kind=compiled arch=gfx906 opt=O3
	.text
	.amdgcn_target "amdgcn-amd-amdhsa--gfx906"
	.amdhsa_code_object_version 6
	.protected	fft_rtc_back_len112_factors_4_7_4_wgs_448_tpt_28_half_op_CI_CI_sbcc ; -- Begin function fft_rtc_back_len112_factors_4_7_4_wgs_448_tpt_28_half_op_CI_CI_sbcc
	.globl	fft_rtc_back_len112_factors_4_7_4_wgs_448_tpt_28_half_op_CI_CI_sbcc
	.p2align	8
	.type	fft_rtc_back_len112_factors_4_7_4_wgs_448_tpt_28_half_op_CI_CI_sbcc,@function
fft_rtc_back_len112_factors_4_7_4_wgs_448_tpt_28_half_op_CI_CI_sbcc: ; @fft_rtc_back_len112_factors_4_7_4_wgs_448_tpt_28_half_op_CI_CI_sbcc
; %bb.0:
	s_load_dwordx4 s[0:3], s[4:5], 0x18
	s_load_dwordx2 s[26:27], s[4:5], 0x28
	s_mov_b32 s7, 0
	s_mov_b64 s[20:21], 0
	s_waitcnt lgkmcnt(0)
	s_load_dwordx2 s[24:25], s[0:1], 0x8
	s_waitcnt lgkmcnt(0)
	s_add_u32 s8, s24, -1
	s_addc_u32 s9, s25, -1
	s_lshr_b64 s[8:9], s[8:9], 4
	s_add_u32 s28, s8, 1
	s_addc_u32 s29, s9, 0
	v_mov_b32_e32 v1, s28
	v_mov_b32_e32 v2, s29
	v_cmp_lt_u64_e32 vcc, s[6:7], v[1:2]
	s_cbranch_vccnz .LBB0_2
; %bb.1:
	v_cvt_f32_u32_e32 v1, s28
	s_sub_i32 s8, 0, s28
	s_mov_b32 s21, s7
	v_rcp_iflag_f32_e32 v1, v1
	v_mul_f32_e32 v1, 0x4f7ffffe, v1
	v_cvt_u32_f32_e32 v1, v1
	v_readfirstlane_b32 s9, v1
	s_mul_i32 s8, s8, s9
	s_mul_hi_u32 s8, s9, s8
	s_add_i32 s9, s9, s8
	s_mul_hi_u32 s8, s6, s9
	s_mul_i32 s10, s8, s28
	s_sub_i32 s10, s6, s10
	s_add_i32 s9, s8, 1
	s_sub_i32 s11, s10, s28
	s_cmp_ge_u32 s10, s28
	s_cselect_b32 s8, s9, s8
	s_cselect_b32 s10, s11, s10
	s_add_i32 s9, s8, 1
	s_cmp_ge_u32 s10, s28
	s_cselect_b32 s20, s9, s8
.LBB0_2:
	s_mul_i32 s22, s20, s29
	s_mul_hi_u32 s23, s20, s28
	s_load_dwordx4 s[12:15], s[4:5], 0x60
	s_load_dwordx4 s[16:19], s[2:3], 0x0
	;; [unrolled: 1-line block ×3, first 2 shown]
	s_add_i32 s23, s23, s22
	s_mul_i32 s22, s20, s28
	s_sub_u32 s34, s6, s22
	s_subb_u32 s35, 0, s23
	v_mov_b32_e32 v1, s34
	v_alignbit_b32 v1, s35, v1, 28
	s_waitcnt lgkmcnt(0)
	v_mul_lo_u32 v2, s18, v1
	s_load_dwordx2 s[22:23], s[4:5], 0x0
	s_load_dwordx2 s[30:31], s[4:5], 0x10
	s_lshl_b64 s[4:5], s[34:35], 4
	s_mul_hi_u32 s33, s18, s4
	v_mul_lo_u32 v1, s10, v1
	v_add_u32_e32 v2, s33, v2
	s_mul_i32 s33, s19, s4
	v_add_u32_e32 v4, s33, v2
	s_mul_i32 s33, s18, s4
	v_mov_b32_e32 v3, s33
	s_mul_hi_u32 s33, s10, s4
	v_add_u32_e32 v1, s33, v1
	s_mul_i32 s33, s11, s4
	s_waitcnt lgkmcnt(0)
	v_cmp_lt_u64_e64 s[34:35], s[30:31], 3
	v_add_u32_e32 v2, s33, v1
	s_mul_i32 s33, s10, s4
	v_mov_b32_e32 v1, s33
	s_and_b64 vcc, exec, s[34:35]
	s_cbranch_vccnz .LBB0_11
; %bb.3:
	s_add_u32 s34, s26, 16
	s_addc_u32 s35, s27, 0
	s_add_u32 s36, s2, 16
	s_addc_u32 s37, s3, 0
	s_add_u32 s38, s0, 16
	v_mov_b32_e32 v5, s30
	s_addc_u32 s39, s1, 0
	s_mov_b64 s[40:41], 2
	s_mov_b32 s42, 0
	v_mov_b32_e32 v6, s31
	s_branch .LBB0_5
.LBB0_4:                                ;   in Loop: Header=BB0_5 Depth=1
	s_mul_i32 s29, s44, s29
	s_mul_hi_u32 s33, s44, s28
	s_add_i32 s29, s33, s29
	s_mul_i32 s33, s45, s28
	s_add_i32 s29, s29, s33
	s_mul_i32 s33, s0, s45
	s_mul_hi_u32 s43, s0, s44
	s_load_dwordx2 s[46:47], s[36:37], 0x0
	s_add_i32 s33, s43, s33
	s_mul_i32 s43, s1, s44
	s_add_i32 s33, s33, s43
	s_mul_i32 s43, s0, s44
	s_sub_u32 s43, s20, s43
	s_subb_u32 s33, s21, s33
	s_waitcnt lgkmcnt(0)
	s_mul_i32 s20, s46, s33
	s_mul_hi_u32 s21, s46, s43
	s_add_i32 s20, s21, s20
	s_mul_i32 s21, s47, s43
	s_add_i32 s20, s20, s21
	v_mov_b32_e32 v7, s20
	s_load_dwordx2 s[20:21], s[34:35], 0x0
	s_mul_i32 s28, s44, s28
	s_mul_i32 s44, s46, s43
	v_add_co_u32_e32 v3, vcc, s44, v3
	s_waitcnt lgkmcnt(0)
	s_mul_i32 s33, s20, s33
	s_mul_hi_u32 s44, s20, s43
	s_add_i32 s33, s44, s33
	s_mul_i32 s21, s21, s43
	s_add_i32 s21, s33, s21
	s_add_u32 s40, s40, 1
	s_addc_u32 s41, s41, 0
	v_addc_co_u32_e32 v4, vcc, v7, v4, vcc
	s_mul_i32 s20, s20, s43
	s_add_u32 s34, s34, 8
	v_mov_b32_e32 v7, s21
	v_add_co_u32_e32 v1, vcc, s20, v1
	s_addc_u32 s35, s35, 0
	v_addc_co_u32_e32 v2, vcc, v7, v2, vcc
	s_add_u32 s36, s36, 8
	s_addc_u32 s37, s37, 0
	v_cmp_ge_u64_e32 vcc, s[40:41], v[5:6]
	s_add_u32 s38, s38, 8
	s_addc_u32 s39, s39, 0
	s_mov_b64 s[20:21], s[0:1]
	s_cbranch_vccnz .LBB0_9
.LBB0_5:                                ; =>This Inner Loop Header: Depth=1
	s_load_dwordx2 s[44:45], s[38:39], 0x0
	s_waitcnt lgkmcnt(0)
	s_or_b64 s[0:1], s[20:21], s[44:45]
	s_mov_b32 s43, s1
	s_cmp_lg_u64 s[42:43], 0
	s_cbranch_scc0 .LBB0_7
; %bb.6:                                ;   in Loop: Header=BB0_5 Depth=1
	v_cvt_f32_u32_e32 v7, s44
	v_cvt_f32_u32_e32 v8, s45
	s_sub_u32 s0, 0, s44
	s_subb_u32 s1, 0, s45
	v_mac_f32_e32 v7, 0x4f800000, v8
	v_rcp_f32_e32 v7, v7
	v_mul_f32_e32 v7, 0x5f7ffffc, v7
	v_mul_f32_e32 v8, 0x2f800000, v7
	v_trunc_f32_e32 v8, v8
	v_mac_f32_e32 v7, 0xcf800000, v8
	v_cvt_u32_f32_e32 v8, v8
	v_cvt_u32_f32_e32 v7, v7
	v_readfirstlane_b32 s33, v8
	v_readfirstlane_b32 s43, v7
	s_mul_i32 s46, s0, s33
	s_mul_hi_u32 s48, s0, s43
	s_mul_i32 s47, s1, s43
	s_add_i32 s46, s48, s46
	s_mul_i32 s49, s0, s43
	s_add_i32 s46, s46, s47
	s_mul_hi_u32 s47, s43, s46
	s_mul_i32 s48, s43, s46
	s_mul_hi_u32 s43, s43, s49
	s_add_u32 s43, s43, s48
	s_addc_u32 s47, 0, s47
	s_mul_hi_u32 s50, s33, s49
	s_mul_i32 s49, s33, s49
	s_add_u32 s43, s43, s49
	s_mul_hi_u32 s48, s33, s46
	s_addc_u32 s43, s47, s50
	s_addc_u32 s47, s48, 0
	s_mul_i32 s46, s33, s46
	s_add_u32 s43, s43, s46
	s_addc_u32 s46, 0, s47
	v_add_co_u32_e32 v7, vcc, s43, v7
	s_cmp_lg_u64 vcc, 0
	s_addc_u32 s33, s33, s46
	v_readfirstlane_b32 s46, v7
	s_mul_i32 s43, s0, s33
	s_mul_hi_u32 s47, s0, s46
	s_add_i32 s43, s47, s43
	s_mul_i32 s1, s1, s46
	s_add_i32 s43, s43, s1
	s_mul_i32 s0, s0, s46
	s_mul_hi_u32 s47, s33, s0
	s_mul_i32 s48, s33, s0
	s_mul_i32 s50, s46, s43
	s_mul_hi_u32 s0, s46, s0
	s_mul_hi_u32 s49, s46, s43
	s_add_u32 s0, s0, s50
	s_addc_u32 s46, 0, s49
	s_add_u32 s0, s0, s48
	s_mul_hi_u32 s1, s33, s43
	s_addc_u32 s0, s46, s47
	s_addc_u32 s1, s1, 0
	s_mul_i32 s43, s33, s43
	s_add_u32 s0, s0, s43
	s_addc_u32 s1, 0, s1
	v_add_co_u32_e32 v7, vcc, s0, v7
	s_cmp_lg_u64 vcc, 0
	s_addc_u32 s0, s33, s1
	v_readfirstlane_b32 s43, v7
	s_mul_i32 s33, s20, s0
	s_mul_hi_u32 s46, s20, s43
	s_mul_hi_u32 s1, s20, s0
	s_add_u32 s33, s46, s33
	s_addc_u32 s1, 0, s1
	s_mul_hi_u32 s47, s21, s43
	s_mul_i32 s43, s21, s43
	s_add_u32 s33, s33, s43
	s_mul_hi_u32 s46, s21, s0
	s_addc_u32 s1, s1, s47
	s_addc_u32 s33, s46, 0
	s_mul_i32 s0, s21, s0
	s_add_u32 s43, s1, s0
	s_addc_u32 s33, 0, s33
	s_mul_i32 s0, s44, s33
	s_mul_hi_u32 s1, s44, s43
	s_add_i32 s0, s1, s0
	s_mul_i32 s1, s45, s43
	s_add_i32 s46, s0, s1
	s_mul_i32 s1, s44, s43
	v_mov_b32_e32 v7, s1
	s_sub_i32 s0, s21, s46
	v_sub_co_u32_e32 v7, vcc, s20, v7
	s_cmp_lg_u64 vcc, 0
	s_subb_u32 s47, s0, s45
	v_subrev_co_u32_e64 v8, s[0:1], s44, v7
	s_cmp_lg_u64 s[0:1], 0
	s_subb_u32 s0, s47, 0
	s_cmp_ge_u32 s0, s45
	v_readfirstlane_b32 s47, v8
	s_cselect_b32 s1, -1, 0
	s_cmp_ge_u32 s47, s44
	s_cselect_b32 s47, -1, 0
	s_cmp_eq_u32 s0, s45
	s_cselect_b32 s0, s47, s1
	s_add_u32 s1, s43, 1
	s_addc_u32 s47, s33, 0
	s_add_u32 s48, s43, 2
	s_addc_u32 s49, s33, 0
	s_cmp_lg_u32 s0, 0
	s_cselect_b32 s0, s48, s1
	s_cselect_b32 s1, s49, s47
	s_cmp_lg_u64 vcc, 0
	s_subb_u32 s46, s21, s46
	s_cmp_ge_u32 s46, s45
	v_readfirstlane_b32 s48, v7
	s_cselect_b32 s47, -1, 0
	s_cmp_ge_u32 s48, s44
	s_cselect_b32 s48, -1, 0
	s_cmp_eq_u32 s46, s45
	s_cselect_b32 s46, s48, s47
	s_cmp_lg_u32 s46, 0
	s_cselect_b32 s1, s1, s33
	s_cselect_b32 s0, s0, s43
	s_cbranch_execnz .LBB0_4
	s_branch .LBB0_8
.LBB0_7:                                ;   in Loop: Header=BB0_5 Depth=1
                                        ; implicit-def: $sgpr0_sgpr1
.LBB0_8:                                ;   in Loop: Header=BB0_5 Depth=1
	v_cvt_f32_u32_e32 v7, s44
	s_sub_i32 s0, 0, s44
	v_rcp_iflag_f32_e32 v7, v7
	v_mul_f32_e32 v7, 0x4f7ffffe, v7
	v_cvt_u32_f32_e32 v7, v7
	v_readfirstlane_b32 s1, v7
	s_mul_i32 s0, s0, s1
	s_mul_hi_u32 s0, s1, s0
	s_add_i32 s1, s1, s0
	s_mul_hi_u32 s0, s20, s1
	s_mul_i32 s33, s0, s44
	s_sub_i32 s33, s20, s33
	s_add_i32 s1, s0, 1
	s_sub_i32 s43, s33, s44
	s_cmp_ge_u32 s33, s44
	s_cselect_b32 s0, s1, s0
	s_cselect_b32 s33, s43, s33
	s_add_i32 s1, s0, 1
	s_cmp_ge_u32 s33, s44
	s_cselect_b32 s0, s1, s0
	s_mov_b32 s1, s42
	s_branch .LBB0_4
.LBB0_9:
	v_mov_b32_e32 v5, s28
	v_mov_b32_e32 v6, s29
	v_cmp_lt_u64_e32 vcc, s[6:7], v[5:6]
	s_mov_b64 s[20:21], 0
	s_cbranch_vccnz .LBB0_11
; %bb.10:
	v_cvt_f32_u32_e32 v5, s28
	s_sub_i32 s0, 0, s28
	v_rcp_iflag_f32_e32 v5, v5
	v_mul_f32_e32 v5, 0x4f7ffffe, v5
	v_cvt_u32_f32_e32 v5, v5
	v_readfirstlane_b32 s1, v5
	s_mul_i32 s0, s0, s1
	s_mul_hi_u32 s0, s1, s0
	s_add_i32 s1, s1, s0
	s_mul_hi_u32 s0, s6, s1
	s_mul_i32 s7, s0, s28
	s_sub_i32 s6, s6, s7
	s_add_i32 s1, s0, 1
	s_sub_i32 s7, s6, s28
	s_cmp_ge_u32 s6, s28
	s_cselect_b32 s0, s1, s0
	s_cselect_b32 s6, s7, s6
	s_add_i32 s1, s0, 1
	s_cmp_ge_u32 s6, s28
	s_cselect_b32 s20, s1, s0
.LBB0_11:
	s_lshl_b64 s[28:29], s[30:31], 3
	s_add_u32 s6, s26, s28
	s_addc_u32 s7, s27, s29
	s_add_u32 s0, s4, 16
	v_mov_b32_e32 v5, s24
	s_addc_u32 s1, s5, 0
	v_mov_b32_e32 v6, s25
	v_and_b32_e32 v12, 15, v0
	v_cmp_le_u64_e32 vcc, s[0:1], v[5:6]
	v_or_b32_e32 v5, s4, v12
	v_mov_b32_e32 v6, s5
	v_cmp_gt_u64_e64 s[0:1], s[24:25], v[5:6]
	v_lshrrev_b32_e32 v9, 4, v0
	s_or_b64 s[0:1], vcc, s[0:1]
	v_lshlrev_b32_e32 v13, 2, v9
	v_add_u32_e32 v11, 28, v9
	v_add_u32_e32 v10, 56, v9
	s_and_saveexec_b64 s[4:5], s[0:1]
	s_cbranch_execz .LBB0_13
; %bb.12:
	s_add_u32 s2, s2, s28
	s_addc_u32 s3, s3, s29
	s_load_dwordx2 s[2:3], s[2:3], 0x0
	v_mad_u64_u32 v[5:6], s[24:25], s18, v12, 0
	v_mad_u64_u32 v[7:8], s[24:25], s16, v9, 0
	s_waitcnt lgkmcnt(0)
	s_mul_i32 s3, s3, s20
	s_mul_hi_u32 s21, s2, s20
	v_mad_u64_u32 v[14:15], s[18:19], s19, v12, v[6:7]
	v_mov_b32_e32 v6, v8
	v_mad_u64_u32 v[15:16], s[18:19], s17, v9, v[6:7]
	s_add_i32 s3, s21, s3
	s_mul_i32 s2, s2, s20
	s_lshl_b64 s[2:3], s[2:3], 2
	s_add_u32 s2, s12, s2
	v_lshlrev_b64 v[3:4], 2, v[3:4]
	s_addc_u32 s3, s13, s3
	v_mov_b32_e32 v6, v14
	v_mov_b32_e32 v8, v15
	;; [unrolled: 1-line block ×3, first 2 shown]
	v_add_co_u32_e32 v15, vcc, s2, v3
	v_addc_co_u32_e32 v14, vcc, v14, v4, vcc
	v_lshlrev_b64 v[3:4], 2, v[5:6]
	v_mad_u64_u32 v[5:6], s[2:3], s16, v11, 0
	v_add_co_u32_e32 v18, vcc, v15, v3
	v_addc_co_u32_e32 v19, vcc, v14, v4, vcc
	v_lshlrev_b64 v[3:4], 2, v[7:8]
	v_mad_u64_u32 v[6:7], s[2:3], s17, v11, v[6:7]
	v_mad_u64_u32 v[7:8], s[2:3], s16, v10, 0
	v_add_u32_e32 v17, 0x54, v9
	v_add_co_u32_e32 v3, vcc, v18, v3
	v_mad_u64_u32 v[14:15], s[2:3], s17, v10, v[8:9]
	v_mad_u64_u32 v[15:16], s[2:3], s16, v17, 0
	v_mov_b32_e32 v8, v14
	v_lshlrev_b64 v[5:6], 2, v[5:6]
	v_mov_b32_e32 v14, v16
	v_mad_u64_u32 v[16:17], s[2:3], s17, v17, v[14:15]
	v_addc_co_u32_e32 v4, vcc, v19, v4, vcc
	v_add_co_u32_e32 v5, vcc, v18, v5
	v_lshlrev_b64 v[7:8], 2, v[7:8]
	v_addc_co_u32_e32 v6, vcc, v19, v6, vcc
	v_add_co_u32_e32 v7, vcc, v18, v7
	v_lshlrev_b64 v[14:15], 2, v[15:16]
	v_addc_co_u32_e32 v8, vcc, v19, v8, vcc
	v_add_co_u32_e32 v14, vcc, v18, v14
	v_addc_co_u32_e32 v15, vcc, v19, v15, vcc
	global_load_dword v16, v[3:4], off
	global_load_dword v17, v[5:6], off
	;; [unrolled: 1-line block ×4, first 2 shown]
	v_mul_u32_u24_e32 v3, 0x1c0, v12
	v_add3_u32 v3, 0, v3, v13
	s_waitcnt vmcnt(2)
	ds_write2_b32 v3, v16, v17 offset1:28
	s_waitcnt vmcnt(0)
	ds_write2_b32 v3, v18, v19 offset0:56 offset1:84
.LBB0_13:
	s_or_b64 exec, exec, s[4:5]
	v_lshrrev_b16_e32 v3, 2, v0
	v_mul_u32_u24_e32 v3, 0x4925, v3
	v_lshrrev_b32_e32 v3, 17, v3
	v_and_b32_e32 v4, 15, v3
	v_mul_lo_u16_e32 v3, 28, v3
	v_mul_lo_u16_e32 v4, 0x70, v4
	v_sub_u16_e32 v14, v0, v3
	v_lshlrev_b32_e32 v16, 2, v4
	v_lshlrev_b32_e32 v0, 2, v14
	v_add3_u32 v15, 0, v16, v0
	v_add3_u32 v0, 0, v0, v16
	s_load_dwordx2 s[2:3], s[6:7], 0x0
	s_waitcnt lgkmcnt(0)
	s_barrier
	ds_read2_b32 v[4:5], v0 offset0:28 offset1:56
	ds_read_b32 v6, v15
	ds_read_b32 v3, v0 offset:336
	s_mov_b32 s4, 0xffff
	v_mad_u32_u24 v7, v14, 12, v0
	v_cmp_gt_u16_e32 vcc, 16, v14
	s_waitcnt lgkmcnt(1)
	v_pk_add_f16 v8, v6, v5 neg_lo:[0,1] neg_hi:[0,1]
	s_waitcnt lgkmcnt(0)
	v_pk_add_f16 v17, v4, v3 neg_lo:[0,1] neg_hi:[0,1]
	v_pk_add_f16 v5, v8, v17 op_sel:[0,1] op_sel_hi:[1,0]
	v_pk_add_f16 v20, v8, v17 op_sel:[0,1] op_sel_hi:[1,0] neg_lo:[0,1] neg_hi:[0,1]
	v_pk_fma_f16 v6, v6, 2.0, v8 op_sel_hi:[1,0,1] neg_lo:[0,0,1] neg_hi:[0,0,1]
	v_pk_fma_f16 v4, v4, 2.0, v17 op_sel_hi:[1,0,1] neg_lo:[0,0,1] neg_hi:[0,0,1]
	v_bfi_b32 v21, s4, v5, v20
	v_pk_add_f16 v4, v6, v4 neg_lo:[0,1] neg_hi:[0,1]
	v_pk_fma_f16 v3, v8, 2.0, v21 op_sel_hi:[1,0,1] neg_lo:[0,0,1] neg_hi:[0,0,1]
	v_lshrrev_b32_e32 v8, 16, v6
	v_lshrrev_b32_e32 v18, 16, v4
	v_fma_f16 v8, v8, 2.0, -v18
	v_fma_f16 v6, v6, 2.0, -v4
	v_lshlrev_b32_e32 v8, 16, v8
	v_or_b32_sdwa v17, v8, v6 dst_sel:DWORD dst_unused:UNUSED_PAD src0_sel:DWORD src1_sel:WORD_0
	v_lshrrev_b32_e32 v19, 16, v3
	v_lshrrev_b32_e32 v20, 16, v20
	s_barrier
	ds_write2_b32 v7, v3, v4 offset0:1 offset1:2
	ds_write2_b32 v7, v17, v21 offset1:3
	s_waitcnt lgkmcnt(0)
	s_barrier
	s_waitcnt lgkmcnt(0)
                                        ; implicit-def: $vgpr23
                                        ; implicit-def: $vgpr8
                                        ; implicit-def: $vgpr21
                                        ; implicit-def: $vgpr22
	s_and_saveexec_b64 s[4:5], vcc
	s_cbranch_execz .LBB0_15
; %bb.14:
	ds_read2_b32 v[3:4], v0 offset0:16 offset1:32
	ds_read2_b32 v[5:6], v0 offset0:48 offset1:64
	ds_read_b32 v17, v15
	ds_read2_b32 v[7:8], v0 offset0:80 offset1:96
	s_waitcnt lgkmcnt(3)
	v_lshrrev_b32_e32 v19, 16, v3
	v_lshrrev_b32_e32 v18, 16, v4
	s_waitcnt lgkmcnt(2)
	v_lshrrev_b32_e32 v20, 16, v5
	v_lshrrev_b32_e32 v22, 16, v6
	;; [unrolled: 3-line block ×3, first 2 shown]
.LBB0_15:
	s_or_b64 exec, exec, s[4:5]
	s_barrier
	s_and_saveexec_b64 s[4:5], vcc
	s_cbranch_execz .LBB0_17
; %bb.16:
	v_and_b32_e32 v30, 3, v14
	v_mul_u32_u24_e32 v24, 6, v30
	v_lshlrev_b32_e32 v31, 2, v24
	global_load_dwordx4 v[24:27], v31, s[22:23]
	global_load_dwordx2 v[28:29], v31, s[22:23] offset:16
	s_movk_i32 s12, 0x2b26
	s_mov_b32 s17, 0xb9e0
	s_movk_i32 s18, 0x39e0
	s_mov_b32 s6, 0xb574
	s_mov_b32 s13, 0xbcab
	s_movk_i32 s16, 0x3574
	s_mov_b32 s7, 0xb70e
	s_waitcnt vmcnt(1)
	v_mul_f16_sdwa v31, v22, v27 dst_sel:DWORD dst_unused:UNUSED_PAD src0_sel:DWORD src1_sel:WORD_1
	v_mul_f16_sdwa v32, v20, v26 dst_sel:DWORD dst_unused:UNUSED_PAD src0_sel:DWORD src1_sel:WORD_1
	;; [unrolled: 1-line block ×4, first 2 shown]
	s_waitcnt vmcnt(0)
	v_mul_f16_sdwa v36, v21, v28 dst_sel:DWORD dst_unused:UNUSED_PAD src0_sel:DWORD src1_sel:WORD_1
	v_mul_f16_sdwa v37, v8, v29 dst_sel:DWORD dst_unused:UNUSED_PAD src0_sel:DWORD src1_sel:WORD_1
	;; [unrolled: 1-line block ×8, first 2 shown]
	v_fma_f16 v6, v6, v27, v31
	v_fma_f16 v5, v5, v26, v32
	;; [unrolled: 1-line block ×4, first 2 shown]
	v_fma_f16 v23, v23, v29, -v37
	v_fma_f16 v19, v19, v24, -v41
	;; [unrolled: 1-line block ×6, first 2 shown]
	v_fma_f16 v8, v8, v29, v35
	v_fma_f16 v3, v3, v24, v39
	v_sub_f16_e32 v25, v6, v5
	v_sub_f16_e32 v26, v4, v7
	v_add_f16_e32 v27, v19, v23
	v_add_f16_e32 v28, v20, v22
	;; [unrolled: 1-line block ×3, first 2 shown]
	v_sub_f16_e32 v24, v3, v8
	v_add_f16_e32 v3, v3, v8
	v_add_f16_e32 v5, v5, v6
	;; [unrolled: 1-line block ×3, first 2 shown]
	v_sub_f16_e32 v6, v19, v23
	v_sub_f16_e32 v7, v22, v20
	;; [unrolled: 1-line block ×3, first 2 shown]
	v_add_f16_e32 v20, v25, v26
	v_sub_f16_e32 v21, v27, v28
	v_sub_f16_e32 v22, v28, v29
	v_add_f16_e32 v23, v29, v27
	v_sub_f16_e32 v18, v24, v25
	v_sub_f16_e32 v19, v25, v26
	;; [unrolled: 1-line block ×4, first 2 shown]
	v_add_f16_e32 v32, v4, v3
	v_sub_f16_e32 v27, v29, v27
	v_sub_f16_e32 v29, v6, v7
	;; [unrolled: 1-line block ×4, first 2 shown]
	v_add_f16_e32 v7, v7, v8
	v_sub_f16_e32 v26, v26, v24
	v_add_f16_e32 v20, v20, v24
	v_mul_f16_e32 v21, 0x3a52, v21
	v_mul_f16_e32 v24, 0x2b26, v22
	v_add_f16_e32 v23, v28, v23
	v_sub_f16_e32 v8, v8, v6
	v_mul_f16_e32 v19, 0x3846, v19
	v_add_f16_e32 v6, v7, v6
	v_mul_f16_e32 v7, 0xbb00, v26
	v_fma_f16 v22, v22, s12, v21
	v_fma_f16 v21, v27, s17, -v21
	v_fma_f16 v24, v27, s18, -v24
	v_add_f16_sdwa v27, v23, v17 dst_sel:DWORD dst_unused:UNUSED_PAD src0_sel:DWORD src1_sel:WORD_1
	v_fma_f16 v7, v18, s16, -v7
	v_fma_f16 v18, v18, s6, v19
	v_fma_f16 v23, v23, s13, v27
	v_add_f16_e32 v5, v5, v32
	v_fma_f16 v18, v20, s7, v18
	v_add_f16_e32 v22, v22, v23
	v_mul_f16_e32 v4, 0x3846, v4
	v_mul_f16_e32 v32, 0xbb00, v8
	v_add_f16_e32 v17, v5, v17
	v_add_f16_e32 v21, v21, v23
	;; [unrolled: 1-line block ×4, first 2 shown]
	v_sub_f16_e32 v18, v22, v18
	v_lshlrev_b32_e32 v22, 16, v27
	v_mul_f16_e32 v25, 0x3a52, v25
	v_mul_f16_e32 v28, 0x2b26, v31
	v_fma_f16 v5, v5, s13, v17
	v_fma_f16 v32, v29, s16, -v32
	v_fma_f16 v29, v29, s6, v4
	s_mov_b32 s6, 0xbb00
	v_or_b32_e32 v17, v22, v17
	v_lshrrev_b32_e32 v22, 2, v14
	v_fma_f16 v31, v31, s12, v25
	v_fma_f16 v19, v26, s6, -v19
	v_fma_f16 v25, v3, s17, -v25
	;; [unrolled: 1-line block ×4, first 2 shown]
	v_mul_u32_u24_e32 v22, 28, v22
	v_fma_f16 v7, v20, s7, v7
	v_fma_f16 v19, v20, s7, v19
	v_add_f16_e32 v25, v25, v5
	v_fma_f16 v32, v6, s7, v32
	v_fma_f16 v4, v6, s7, v4
	v_add_f16_e32 v3, v3, v5
	v_or_b32_e32 v22, v22, v30
	v_add_f16_e32 v31, v31, v5
	v_fma_f16 v29, v6, s7, v29
	v_add_f16_e32 v20, v7, v21
	v_sub_f16_e32 v6, v23, v19
	v_add_f16_e32 v5, v4, v3
	v_add_f16_e32 v19, v19, v23
	v_sub_f16_e32 v3, v3, v4
	v_sub_f16_e32 v4, v21, v7
	v_add_f16_e32 v7, v32, v25
	v_lshlrev_b32_e32 v22, 2, v22
	v_sub_f16_e32 v8, v25, v32
	v_add3_u32 v16, 0, v22, v16
	v_pack_b32_f16 v4, v7, v4
	v_pack_b32_f16 v3, v3, v19
	v_sub_f16_e32 v26, v31, v29
	v_add_f16_e32 v21, v29, v31
	ds_write2_b32 v16, v4, v3 offset0:8 offset1:12
	v_pack_b32_f16 v3, v5, v6
	v_pack_b32_f16 v4, v8, v20
	;; [unrolled: 1-line block ×3, first 2 shown]
	ds_write2_b32 v16, v3, v4 offset0:16 offset1:20
	v_pack_b32_f16 v3, v26, v24
	ds_write2_b32 v16, v17, v18 offset1:4
	ds_write_b32 v16, v3 offset:96
.LBB0_17:
	s_or_b64 exec, exec, s[4:5]
	v_mul_u32_u24_e32 v3, 3, v14
	v_lshlrev_b32_e32 v3, 2, v3
	s_waitcnt lgkmcnt(0)
	s_barrier
	global_load_dwordx3 v[3:5], v3, s[22:23] offset:96
	ds_read2_b32 v[6:7], v0 offset0:28 offset1:56
	ds_read_b32 v8, v15
	ds_read_b32 v14, v0 offset:336
	s_waitcnt vmcnt(0) lgkmcnt(0)
	s_barrier
	v_lshrrev_b32_e32 v15, 16, v6
	v_lshrrev_b32_e32 v16, 16, v7
	;; [unrolled: 1-line block ×4, first 2 shown]
	v_mul_f16_sdwa v19, v3, v15 dst_sel:DWORD dst_unused:UNUSED_PAD src0_sel:WORD_1 src1_sel:DWORD
	v_mul_f16_sdwa v20, v3, v6 dst_sel:DWORD dst_unused:UNUSED_PAD src0_sel:WORD_1 src1_sel:DWORD
	;; [unrolled: 1-line block ×6, first 2 shown]
	v_fma_f16 v6, v3, v6, v19
	v_fma_f16 v3, v3, v15, -v20
	v_fma_f16 v7, v4, v7, v21
	v_fma_f16 v4, v4, v16, -v22
	;; [unrolled: 2-line block ×3, first 2 shown]
	v_sub_f16_e32 v4, v18, v4
	v_sub_f16_e32 v5, v3, v5
	v_sub_f16_e32 v7, v8, v7
	v_sub_f16_e32 v14, v6, v14
	v_fma_f16 v15, v18, 2.0, -v4
	v_fma_f16 v3, v3, 2.0, -v5
	;; [unrolled: 1-line block ×4, first 2 shown]
	v_add_f16_e32 v5, v7, v5
	v_sub_f16_e32 v14, v4, v14
	v_sub_f16_e32 v3, v15, v3
	;; [unrolled: 1-line block ×3, first 2 shown]
	v_fma_f16 v7, v7, 2.0, -v5
	v_fma_f16 v4, v4, 2.0, -v14
	v_pack_b32_f16 v5, v5, v14
	v_fma_f16 v14, v15, 2.0, -v3
	v_fma_f16 v8, v8, 2.0, -v6
	v_pack_b32_f16 v3, v6, v3
	v_lshlrev_b32_e32 v6, 16, v14
	v_pack_b32_f16 v4, v7, v4
	ds_write2_b32 v0, v3, v5 offset0:56 offset1:84
	v_or_b32_sdwa v3, v6, v8 dst_sel:DWORD dst_unused:UNUSED_PAD src0_sel:DWORD src1_sel:WORD_0
	ds_write2_b32 v0, v3, v4 offset1:28
	s_waitcnt lgkmcnt(0)
	s_barrier
	s_and_saveexec_b64 s[4:5], s[0:1]
	s_cbranch_execz .LBB0_19
; %bb.18:
	v_mad_u64_u32 v[3:4], s[0:1], s10, v12, 0
	v_mad_u64_u32 v[5:6], s[0:1], s8, v9, 0
	v_mov_b32_e32 v0, v4
	v_mad_u64_u32 v[7:8], s[0:1], s11, v12, v[0:1]
	v_mov_b32_e32 v0, v6
	s_mul_i32 s3, s3, s20
	s_mul_hi_u32 s4, s2, s20
	v_mad_u64_u32 v[14:15], s[0:1], s9, v9, v[0:1]
	s_add_i32 s1, s4, s3
	s_mul_i32 s0, s2, s20
	v_mul_u32_u24_e32 v0, 0x1c0, v12
	s_lshl_b64 s[0:1], s[0:1], 2
	v_add3_u32 v12, 0, v0, v13
	s_add_u32 s0, s14, s0
	v_lshlrev_b64 v[0:1], 2, v[1:2]
	s_addc_u32 s1, s15, s1
	v_mov_b32_e32 v4, v7
	v_mov_b32_e32 v2, s1
	v_add_co_u32_e32 v13, vcc, s0, v0
	v_mov_b32_e32 v6, v14
	v_addc_co_u32_e32 v14, vcc, v2, v1, vcc
	v_lshlrev_b64 v[0:1], 2, v[3:4]
	v_mad_u64_u32 v[2:3], s[0:1], s8, v11, 0
	ds_read2_b32 v[7:8], v12 offset1:28
	v_add_co_u32_e32 v13, vcc, v13, v0
	v_addc_co_u32_e32 v14, vcc, v14, v1, vcc
	v_lshlrev_b64 v[0:1], 2, v[5:6]
	v_mad_u64_u32 v[3:4], s[0:1], s9, v11, v[3:4]
	v_add_co_u32_e32 v0, vcc, v13, v0
	v_addc_co_u32_e32 v1, vcc, v14, v1, vcc
	s_waitcnt lgkmcnt(0)
	global_store_dword v[0:1], v7, off
	v_lshlrev_b64 v[0:1], 2, v[2:3]
	v_mad_u64_u32 v[2:3], s[0:1], s8, v10, 0
	v_add_co_u32_e32 v0, vcc, v13, v0
	v_addc_co_u32_e32 v1, vcc, v14, v1, vcc
	global_store_dword v[0:1], v8, off
	v_mov_b32_e32 v0, v3
	v_mad_u64_u32 v[0:1], s[0:1], s9, v10, v[0:1]
	v_add_u32_e32 v6, 0x54, v9
	v_mad_u64_u32 v[4:5], s[0:1], s8, v6, 0
	v_mov_b32_e32 v3, v0
	ds_read2_b32 v[0:1], v12 offset0:56 offset1:84
	v_lshlrev_b64 v[2:3], 2, v[2:3]
	v_mad_u64_u32 v[5:6], s[0:1], s9, v6, v[5:6]
	v_add_co_u32_e32 v2, vcc, v13, v2
	v_addc_co_u32_e32 v3, vcc, v14, v3, vcc
	s_waitcnt lgkmcnt(0)
	global_store_dword v[2:3], v0, off
	v_lshlrev_b64 v[2:3], 2, v[4:5]
	v_add_co_u32_e32 v2, vcc, v13, v2
	v_addc_co_u32_e32 v3, vcc, v14, v3, vcc
	global_store_dword v[2:3], v1, off
.LBB0_19:
	s_endpgm
	.section	.rodata,"a",@progbits
	.p2align	6, 0x0
	.amdhsa_kernel fft_rtc_back_len112_factors_4_7_4_wgs_448_tpt_28_half_op_CI_CI_sbcc
		.amdhsa_group_segment_fixed_size 0
		.amdhsa_private_segment_fixed_size 0
		.amdhsa_kernarg_size 112
		.amdhsa_user_sgpr_count 6
		.amdhsa_user_sgpr_private_segment_buffer 1
		.amdhsa_user_sgpr_dispatch_ptr 0
		.amdhsa_user_sgpr_queue_ptr 0
		.amdhsa_user_sgpr_kernarg_segment_ptr 1
		.amdhsa_user_sgpr_dispatch_id 0
		.amdhsa_user_sgpr_flat_scratch_init 0
		.amdhsa_user_sgpr_private_segment_size 0
		.amdhsa_uses_dynamic_stack 0
		.amdhsa_system_sgpr_private_segment_wavefront_offset 0
		.amdhsa_system_sgpr_workgroup_id_x 1
		.amdhsa_system_sgpr_workgroup_id_y 0
		.amdhsa_system_sgpr_workgroup_id_z 0
		.amdhsa_system_sgpr_workgroup_info 0
		.amdhsa_system_vgpr_workitem_id 0
		.amdhsa_next_free_vgpr 43
		.amdhsa_next_free_sgpr 51
		.amdhsa_reserve_vcc 1
		.amdhsa_reserve_flat_scratch 0
		.amdhsa_float_round_mode_32 0
		.amdhsa_float_round_mode_16_64 0
		.amdhsa_float_denorm_mode_32 3
		.amdhsa_float_denorm_mode_16_64 3
		.amdhsa_dx10_clamp 1
		.amdhsa_ieee_mode 1
		.amdhsa_fp16_overflow 0
		.amdhsa_exception_fp_ieee_invalid_op 0
		.amdhsa_exception_fp_denorm_src 0
		.amdhsa_exception_fp_ieee_div_zero 0
		.amdhsa_exception_fp_ieee_overflow 0
		.amdhsa_exception_fp_ieee_underflow 0
		.amdhsa_exception_fp_ieee_inexact 0
		.amdhsa_exception_int_div_zero 0
	.end_amdhsa_kernel
	.text
.Lfunc_end0:
	.size	fft_rtc_back_len112_factors_4_7_4_wgs_448_tpt_28_half_op_CI_CI_sbcc, .Lfunc_end0-fft_rtc_back_len112_factors_4_7_4_wgs_448_tpt_28_half_op_CI_CI_sbcc
                                        ; -- End function
	.section	.AMDGPU.csdata,"",@progbits
; Kernel info:
; codeLenInByte = 3548
; NumSgprs: 55
; NumVgprs: 43
; ScratchSize: 0
; MemoryBound: 0
; FloatMode: 240
; IeeeMode: 1
; LDSByteSize: 0 bytes/workgroup (compile time only)
; SGPRBlocks: 6
; VGPRBlocks: 10
; NumSGPRsForWavesPerEU: 55
; NumVGPRsForWavesPerEU: 43
; Occupancy: 5
; WaveLimiterHint : 1
; COMPUTE_PGM_RSRC2:SCRATCH_EN: 0
; COMPUTE_PGM_RSRC2:USER_SGPR: 6
; COMPUTE_PGM_RSRC2:TRAP_HANDLER: 0
; COMPUTE_PGM_RSRC2:TGID_X_EN: 1
; COMPUTE_PGM_RSRC2:TGID_Y_EN: 0
; COMPUTE_PGM_RSRC2:TGID_Z_EN: 0
; COMPUTE_PGM_RSRC2:TIDIG_COMP_CNT: 0
	.type	__hip_cuid_6d5af38e9cba540e,@object ; @__hip_cuid_6d5af38e9cba540e
	.section	.bss,"aw",@nobits
	.globl	__hip_cuid_6d5af38e9cba540e
__hip_cuid_6d5af38e9cba540e:
	.byte	0                               ; 0x0
	.size	__hip_cuid_6d5af38e9cba540e, 1

	.ident	"AMD clang version 19.0.0git (https://github.com/RadeonOpenCompute/llvm-project roc-6.4.0 25133 c7fe45cf4b819c5991fe208aaa96edf142730f1d)"
	.section	".note.GNU-stack","",@progbits
	.addrsig
	.addrsig_sym __hip_cuid_6d5af38e9cba540e
	.amdgpu_metadata
---
amdhsa.kernels:
  - .args:
      - .actual_access:  read_only
        .address_space:  global
        .offset:         0
        .size:           8
        .value_kind:     global_buffer
      - .address_space:  global
        .offset:         8
        .size:           8
        .value_kind:     global_buffer
      - .offset:         16
        .size:           8
        .value_kind:     by_value
      - .actual_access:  read_only
        .address_space:  global
        .offset:         24
        .size:           8
        .value_kind:     global_buffer
      - .actual_access:  read_only
        .address_space:  global
        .offset:         32
        .size:           8
        .value_kind:     global_buffer
      - .actual_access:  read_only
        .address_space:  global
        .offset:         40
        .size:           8
        .value_kind:     global_buffer
      - .offset:         48
        .size:           8
        .value_kind:     by_value
      - .actual_access:  read_only
        .address_space:  global
        .offset:         56
        .size:           8
        .value_kind:     global_buffer
      - .actual_access:  read_only
        .address_space:  global
        .offset:         64
        .size:           8
        .value_kind:     global_buffer
      - .offset:         72
        .size:           4
        .value_kind:     by_value
      - .actual_access:  read_only
        .address_space:  global
        .offset:         80
        .size:           8
        .value_kind:     global_buffer
      - .actual_access:  read_only
        .address_space:  global
        .offset:         88
        .size:           8
        .value_kind:     global_buffer
      - .actual_access:  read_only
        .address_space:  global
        .offset:         96
        .size:           8
        .value_kind:     global_buffer
      - .actual_access:  write_only
        .address_space:  global
        .offset:         104
        .size:           8
        .value_kind:     global_buffer
    .group_segment_fixed_size: 0
    .kernarg_segment_align: 8
    .kernarg_segment_size: 112
    .language:       OpenCL C
    .language_version:
      - 2
      - 0
    .max_flat_workgroup_size: 448
    .name:           fft_rtc_back_len112_factors_4_7_4_wgs_448_tpt_28_half_op_CI_CI_sbcc
    .private_segment_fixed_size: 0
    .sgpr_count:     55
    .sgpr_spill_count: 0
    .symbol:         fft_rtc_back_len112_factors_4_7_4_wgs_448_tpt_28_half_op_CI_CI_sbcc.kd
    .uniform_work_group_size: 1
    .uses_dynamic_stack: false
    .vgpr_count:     43
    .vgpr_spill_count: 0
    .wavefront_size: 64
amdhsa.target:   amdgcn-amd-amdhsa--gfx906
amdhsa.version:
  - 1
  - 2
...

	.end_amdgpu_metadata
